;; amdgpu-corpus repo=ROCm/rocSPARSE kind=compiled arch=gfx1030 opt=O3
	.amdgcn_target "amdgcn-amd-amdhsa--gfx1030"
	.amdhsa_code_object_version 6
	.section	.text._ZN9rocsparseL14coo2csr_kernelILj512EiiEEvT1_T0_PKS1_PS2_21rocsparse_index_base_,"axG",@progbits,_ZN9rocsparseL14coo2csr_kernelILj512EiiEEvT1_T0_PKS1_PS2_21rocsparse_index_base_,comdat
	.globl	_ZN9rocsparseL14coo2csr_kernelILj512EiiEEvT1_T0_PKS1_PS2_21rocsparse_index_base_ ; -- Begin function _ZN9rocsparseL14coo2csr_kernelILj512EiiEEvT1_T0_PKS1_PS2_21rocsparse_index_base_
	.p2align	8
	.type	_ZN9rocsparseL14coo2csr_kernelILj512EiiEEvT1_T0_PKS1_PS2_21rocsparse_index_base_,@function
_ZN9rocsparseL14coo2csr_kernelILj512EiiEEvT1_T0_PKS1_PS2_21rocsparse_index_base_: ; @_ZN9rocsparseL14coo2csr_kernelILj512EiiEEvT1_T0_PKS1_PS2_21rocsparse_index_base_
; %bb.0:
	s_load_dwordx2 s[8:9], s[4:5], 0x0
	v_lshl_or_b32 v0, s6, 9, v0
	s_mov_b32 s0, exec_lo
	s_waitcnt lgkmcnt(0)
	v_cmpx_gt_i32_e64 s8, v0
	s_cbranch_execz .LBB0_11
; %bb.1:
	s_clause 0x1
	s_load_dwordx4 s[0:3], s[4:5], 0x8
	s_load_dword s4, s[4:5], 0x18
	s_mov_b32 s5, exec_lo
                                        ; implicit-def: $vgpr2
	v_cmpx_ne_u32_e32 0, v0
	s_xor_b32 s5, exec_lo, s5
	s_cbranch_execz .LBB0_8
; %bb.2:
	s_cmp_lt_i32 s9, 1
	s_cbranch_scc1 .LBB0_6
; %bb.3:
	s_waitcnt lgkmcnt(0)
	v_add_nc_u32_e32 v4, s4, v0
	v_mov_b32_e32 v2, 0
	v_mov_b32_e32 v5, s9
	;; [unrolled: 1-line block ×3, first 2 shown]
	s_mov_b32 s6, 0
	.p2align	6
.LBB0_4:                                ; =>This Inner Loop Header: Depth=1
	v_sub_nc_u32_e32 v1, v5, v3
	v_lshrrev_b32_e32 v1, 1, v1
	v_add_nc_u32_e32 v1, v1, v3
	v_lshlrev_b64 v[6:7], 2, v[1:2]
	v_add_co_u32 v6, vcc_lo, s0, v6
	v_add_co_ci_u32_e64 v7, null, s1, v7, vcc_lo
	global_load_dword v6, v[6:7], off
	v_add_nc_u32_e32 v7, 1, v1
	s_waitcnt vmcnt(0)
	v_cmp_lt_i32_e32 vcc_lo, v6, v4
	v_cndmask_b32_e32 v5, v1, v5, vcc_lo
	v_cndmask_b32_e32 v3, v3, v7, vcc_lo
	v_cmp_ge_i32_e32 vcc_lo, v3, v5
	s_or_b32 s6, vcc_lo, s6
	s_andn2_b32 exec_lo, exec_lo, s6
	s_cbranch_execnz .LBB0_4
; %bb.5:
	s_or_b32 exec_lo, exec_lo, s6
	s_branch .LBB0_7
.LBB0_6:
	v_mov_b32_e32 v3, 0
.LBB0_7:
	s_waitcnt lgkmcnt(0)
	v_add_nc_u32_e32 v2, s4, v3
.LBB0_8:
	s_waitcnt lgkmcnt(0)
	s_andn2_saveexec_b32 s0, s5
	s_cbranch_execz .LBB0_10
; %bb.9:
	s_add_i32 s1, s4, s9
	v_mov_b32_e32 v1, 0
	v_mov_b32_e32 v3, s4
	;; [unrolled: 1-line block ×4, first 2 shown]
	global_store_dword v1, v3, s[2:3]
.LBB0_10:
	s_or_b32 exec_lo, exec_lo, s0
	v_ashrrev_i32_e32 v1, 31, v0
	v_lshlrev_b64 v[0:1], 2, v[0:1]
	v_add_co_u32 v0, vcc_lo, s2, v0
	v_add_co_ci_u32_e64 v1, null, s3, v1, vcc_lo
	global_store_dword v[0:1], v2, off
.LBB0_11:
	s_endpgm
	.section	.rodata,"a",@progbits
	.p2align	6, 0x0
	.amdhsa_kernel _ZN9rocsparseL14coo2csr_kernelILj512EiiEEvT1_T0_PKS1_PS2_21rocsparse_index_base_
		.amdhsa_group_segment_fixed_size 0
		.amdhsa_private_segment_fixed_size 0
		.amdhsa_kernarg_size 28
		.amdhsa_user_sgpr_count 6
		.amdhsa_user_sgpr_private_segment_buffer 1
		.amdhsa_user_sgpr_dispatch_ptr 0
		.amdhsa_user_sgpr_queue_ptr 0
		.amdhsa_user_sgpr_kernarg_segment_ptr 1
		.amdhsa_user_sgpr_dispatch_id 0
		.amdhsa_user_sgpr_flat_scratch_init 0
		.amdhsa_user_sgpr_private_segment_size 0
		.amdhsa_wavefront_size32 1
		.amdhsa_uses_dynamic_stack 0
		.amdhsa_system_sgpr_private_segment_wavefront_offset 0
		.amdhsa_system_sgpr_workgroup_id_x 1
		.amdhsa_system_sgpr_workgroup_id_y 0
		.amdhsa_system_sgpr_workgroup_id_z 0
		.amdhsa_system_sgpr_workgroup_info 0
		.amdhsa_system_vgpr_workitem_id 0
		.amdhsa_next_free_vgpr 8
		.amdhsa_next_free_sgpr 10
		.amdhsa_reserve_vcc 1
		.amdhsa_reserve_flat_scratch 0
		.amdhsa_float_round_mode_32 0
		.amdhsa_float_round_mode_16_64 0
		.amdhsa_float_denorm_mode_32 3
		.amdhsa_float_denorm_mode_16_64 3
		.amdhsa_dx10_clamp 1
		.amdhsa_ieee_mode 1
		.amdhsa_fp16_overflow 0
		.amdhsa_workgroup_processor_mode 1
		.amdhsa_memory_ordered 1
		.amdhsa_forward_progress 1
		.amdhsa_shared_vgpr_count 0
		.amdhsa_exception_fp_ieee_invalid_op 0
		.amdhsa_exception_fp_denorm_src 0
		.amdhsa_exception_fp_ieee_div_zero 0
		.amdhsa_exception_fp_ieee_overflow 0
		.amdhsa_exception_fp_ieee_underflow 0
		.amdhsa_exception_fp_ieee_inexact 0
		.amdhsa_exception_int_div_zero 0
	.end_amdhsa_kernel
	.section	.text._ZN9rocsparseL14coo2csr_kernelILj512EiiEEvT1_T0_PKS1_PS2_21rocsparse_index_base_,"axG",@progbits,_ZN9rocsparseL14coo2csr_kernelILj512EiiEEvT1_T0_PKS1_PS2_21rocsparse_index_base_,comdat
.Lfunc_end0:
	.size	_ZN9rocsparseL14coo2csr_kernelILj512EiiEEvT1_T0_PKS1_PS2_21rocsparse_index_base_, .Lfunc_end0-_ZN9rocsparseL14coo2csr_kernelILj512EiiEEvT1_T0_PKS1_PS2_21rocsparse_index_base_
                                        ; -- End function
	.set _ZN9rocsparseL14coo2csr_kernelILj512EiiEEvT1_T0_PKS1_PS2_21rocsparse_index_base_.num_vgpr, 8
	.set _ZN9rocsparseL14coo2csr_kernelILj512EiiEEvT1_T0_PKS1_PS2_21rocsparse_index_base_.num_agpr, 0
	.set _ZN9rocsparseL14coo2csr_kernelILj512EiiEEvT1_T0_PKS1_PS2_21rocsparse_index_base_.numbered_sgpr, 10
	.set _ZN9rocsparseL14coo2csr_kernelILj512EiiEEvT1_T0_PKS1_PS2_21rocsparse_index_base_.num_named_barrier, 0
	.set _ZN9rocsparseL14coo2csr_kernelILj512EiiEEvT1_T0_PKS1_PS2_21rocsparse_index_base_.private_seg_size, 0
	.set _ZN9rocsparseL14coo2csr_kernelILj512EiiEEvT1_T0_PKS1_PS2_21rocsparse_index_base_.uses_vcc, 1
	.set _ZN9rocsparseL14coo2csr_kernelILj512EiiEEvT1_T0_PKS1_PS2_21rocsparse_index_base_.uses_flat_scratch, 0
	.set _ZN9rocsparseL14coo2csr_kernelILj512EiiEEvT1_T0_PKS1_PS2_21rocsparse_index_base_.has_dyn_sized_stack, 0
	.set _ZN9rocsparseL14coo2csr_kernelILj512EiiEEvT1_T0_PKS1_PS2_21rocsparse_index_base_.has_recursion, 0
	.set _ZN9rocsparseL14coo2csr_kernelILj512EiiEEvT1_T0_PKS1_PS2_21rocsparse_index_base_.has_indirect_call, 0
	.section	.AMDGPU.csdata,"",@progbits
; Kernel info:
; codeLenInByte = 312
; TotalNumSgprs: 12
; NumVgprs: 8
; ScratchSize: 0
; MemoryBound: 0
; FloatMode: 240
; IeeeMode: 1
; LDSByteSize: 0 bytes/workgroup (compile time only)
; SGPRBlocks: 0
; VGPRBlocks: 0
; NumSGPRsForWavesPerEU: 12
; NumVGPRsForWavesPerEU: 8
; Occupancy: 16
; WaveLimiterHint : 0
; COMPUTE_PGM_RSRC2:SCRATCH_EN: 0
; COMPUTE_PGM_RSRC2:USER_SGPR: 6
; COMPUTE_PGM_RSRC2:TRAP_HANDLER: 0
; COMPUTE_PGM_RSRC2:TGID_X_EN: 1
; COMPUTE_PGM_RSRC2:TGID_Y_EN: 0
; COMPUTE_PGM_RSRC2:TGID_Z_EN: 0
; COMPUTE_PGM_RSRC2:TIDIG_COMP_CNT: 0
	.section	.text._ZN9rocsparseL14coo2csr_kernelILj512EliEEvT1_T0_PKS1_PS2_21rocsparse_index_base_,"axG",@progbits,_ZN9rocsparseL14coo2csr_kernelILj512EliEEvT1_T0_PKS1_PS2_21rocsparse_index_base_,comdat
	.globl	_ZN9rocsparseL14coo2csr_kernelILj512EliEEvT1_T0_PKS1_PS2_21rocsparse_index_base_ ; -- Begin function _ZN9rocsparseL14coo2csr_kernelILj512EliEEvT1_T0_PKS1_PS2_21rocsparse_index_base_
	.p2align	8
	.type	_ZN9rocsparseL14coo2csr_kernelILj512EliEEvT1_T0_PKS1_PS2_21rocsparse_index_base_,@function
_ZN9rocsparseL14coo2csr_kernelILj512EliEEvT1_T0_PKS1_PS2_21rocsparse_index_base_: ; @_ZN9rocsparseL14coo2csr_kernelILj512EliEEvT1_T0_PKS1_PS2_21rocsparse_index_base_
; %bb.0:
	s_load_dword s8, s[4:5], 0x0
	v_lshl_or_b32 v0, s6, 9, v0
	s_mov_b32 s0, exec_lo
	s_waitcnt lgkmcnt(0)
	v_cmpx_gt_i32_e64 s8, v0
	s_cbranch_execz .LBB1_11
; %bb.1:
	s_clause 0x2
	s_load_dwordx4 s[0:3], s[4:5], 0x8
	s_load_dwordx2 s[6:7], s[4:5], 0x18
	s_load_dword s4, s[4:5], 0x20
	s_mov_b32 s5, exec_lo
                                        ; implicit-def: $vgpr3_vgpr4
	v_cmpx_ne_u32_e32 0, v0
	s_xor_b32 s5, exec_lo, s5
	s_cbranch_execz .LBB1_8
; %bb.2:
	s_waitcnt lgkmcnt(0)
	v_cmp_lt_i64_e64 s9, s[0:1], 1
	s_and_b32 vcc_lo, exec_lo, s9
	s_cbranch_vccnz .LBB1_6
; %bb.3:
	v_mov_b32_e32 v1, 0
	v_mov_b32_e32 v4, s1
	v_add_nc_u32_e32 v5, s4, v0
	v_mov_b32_e32 v2, 0
	v_mov_b32_e32 v3, s0
	s_mov_b32 s9, 0
	.p2align	6
.LBB1_4:                                ; =>This Inner Loop Header: Depth=1
	v_sub_co_u32 v6, vcc_lo, v3, v1
	v_sub_co_ci_u32_e64 v7, null, v4, v2, vcc_lo
	v_lshrrev_b64 v[6:7], 1, v[6:7]
	v_add_co_u32 v6, vcc_lo, v6, v1
	v_add_co_ci_u32_e64 v7, null, v7, v2, vcc_lo
	v_lshlrev_b64 v[8:9], 2, v[6:7]
	v_add_co_u32 v8, vcc_lo, s2, v8
	v_add_co_ci_u32_e64 v9, null, s3, v9, vcc_lo
	global_load_dword v8, v[8:9], off
	v_add_co_u32 v9, vcc_lo, v6, 1
	v_add_co_ci_u32_e64 v10, null, 0, v7, vcc_lo
	s_waitcnt vmcnt(0)
	v_cmp_lt_i32_e32 vcc_lo, v8, v5
	v_cndmask_b32_e32 v4, v7, v4, vcc_lo
	v_cndmask_b32_e32 v3, v6, v3, vcc_lo
	;; [unrolled: 1-line block ×4, first 2 shown]
	v_cmp_ge_i64_e32 vcc_lo, v[1:2], v[3:4]
	s_or_b32 s9, vcc_lo, s9
	s_andn2_b32 exec_lo, exec_lo, s9
	s_cbranch_execnz .LBB1_4
; %bb.5:
	s_or_b32 exec_lo, exec_lo, s9
	s_branch .LBB1_7
.LBB1_6:
	v_mov_b32_e32 v1, 0
	v_mov_b32_e32 v2, 0
.LBB1_7:
	v_add_co_u32 v3, vcc_lo, v1, s4
	v_add_co_ci_u32_e64 v4, null, 0, v2, vcc_lo
.LBB1_8:
	s_waitcnt lgkmcnt(0)
	s_andn2_saveexec_b32 s2, s5
	s_cbranch_execz .LBB1_10
; %bb.9:
	s_add_u32 s0, s0, s4
	s_addc_u32 s1, s1, 0
	s_mov_b32 s5, 0
	v_mov_b32_e32 v1, s4
	v_mov_b32_e32 v4, s1
	;; [unrolled: 1-line block ×6, first 2 shown]
	global_store_dwordx2 v5, v[1:2], s[6:7]
.LBB1_10:
	s_or_b32 exec_lo, exec_lo, s2
	v_ashrrev_i32_e32 v1, 31, v0
	v_lshlrev_b64 v[0:1], 3, v[0:1]
	v_add_co_u32 v0, vcc_lo, s6, v0
	v_add_co_ci_u32_e64 v1, null, s7, v1, vcc_lo
	global_store_dwordx2 v[0:1], v[3:4], off
.LBB1_11:
	s_endpgm
	.section	.rodata,"a",@progbits
	.p2align	6, 0x0
	.amdhsa_kernel _ZN9rocsparseL14coo2csr_kernelILj512EliEEvT1_T0_PKS1_PS2_21rocsparse_index_base_
		.amdhsa_group_segment_fixed_size 0
		.amdhsa_private_segment_fixed_size 0
		.amdhsa_kernarg_size 36
		.amdhsa_user_sgpr_count 6
		.amdhsa_user_sgpr_private_segment_buffer 1
		.amdhsa_user_sgpr_dispatch_ptr 0
		.amdhsa_user_sgpr_queue_ptr 0
		.amdhsa_user_sgpr_kernarg_segment_ptr 1
		.amdhsa_user_sgpr_dispatch_id 0
		.amdhsa_user_sgpr_flat_scratch_init 0
		.amdhsa_user_sgpr_private_segment_size 0
		.amdhsa_wavefront_size32 1
		.amdhsa_uses_dynamic_stack 0
		.amdhsa_system_sgpr_private_segment_wavefront_offset 0
		.amdhsa_system_sgpr_workgroup_id_x 1
		.amdhsa_system_sgpr_workgroup_id_y 0
		.amdhsa_system_sgpr_workgroup_id_z 0
		.amdhsa_system_sgpr_workgroup_info 0
		.amdhsa_system_vgpr_workitem_id 0
		.amdhsa_next_free_vgpr 11
		.amdhsa_next_free_sgpr 10
		.amdhsa_reserve_vcc 1
		.amdhsa_reserve_flat_scratch 0
		.amdhsa_float_round_mode_32 0
		.amdhsa_float_round_mode_16_64 0
		.amdhsa_float_denorm_mode_32 3
		.amdhsa_float_denorm_mode_16_64 3
		.amdhsa_dx10_clamp 1
		.amdhsa_ieee_mode 1
		.amdhsa_fp16_overflow 0
		.amdhsa_workgroup_processor_mode 1
		.amdhsa_memory_ordered 1
		.amdhsa_forward_progress 1
		.amdhsa_shared_vgpr_count 0
		.amdhsa_exception_fp_ieee_invalid_op 0
		.amdhsa_exception_fp_denorm_src 0
		.amdhsa_exception_fp_ieee_div_zero 0
		.amdhsa_exception_fp_ieee_overflow 0
		.amdhsa_exception_fp_ieee_underflow 0
		.amdhsa_exception_fp_ieee_inexact 0
		.amdhsa_exception_int_div_zero 0
	.end_amdhsa_kernel
	.section	.text._ZN9rocsparseL14coo2csr_kernelILj512EliEEvT1_T0_PKS1_PS2_21rocsparse_index_base_,"axG",@progbits,_ZN9rocsparseL14coo2csr_kernelILj512EliEEvT1_T0_PKS1_PS2_21rocsparse_index_base_,comdat
.Lfunc_end1:
	.size	_ZN9rocsparseL14coo2csr_kernelILj512EliEEvT1_T0_PKS1_PS2_21rocsparse_index_base_, .Lfunc_end1-_ZN9rocsparseL14coo2csr_kernelILj512EliEEvT1_T0_PKS1_PS2_21rocsparse_index_base_
                                        ; -- End function
	.set _ZN9rocsparseL14coo2csr_kernelILj512EliEEvT1_T0_PKS1_PS2_21rocsparse_index_base_.num_vgpr, 11
	.set _ZN9rocsparseL14coo2csr_kernelILj512EliEEvT1_T0_PKS1_PS2_21rocsparse_index_base_.num_agpr, 0
	.set _ZN9rocsparseL14coo2csr_kernelILj512EliEEvT1_T0_PKS1_PS2_21rocsparse_index_base_.numbered_sgpr, 10
	.set _ZN9rocsparseL14coo2csr_kernelILj512EliEEvT1_T0_PKS1_PS2_21rocsparse_index_base_.num_named_barrier, 0
	.set _ZN9rocsparseL14coo2csr_kernelILj512EliEEvT1_T0_PKS1_PS2_21rocsparse_index_base_.private_seg_size, 0
	.set _ZN9rocsparseL14coo2csr_kernelILj512EliEEvT1_T0_PKS1_PS2_21rocsparse_index_base_.uses_vcc, 1
	.set _ZN9rocsparseL14coo2csr_kernelILj512EliEEvT1_T0_PKS1_PS2_21rocsparse_index_base_.uses_flat_scratch, 0
	.set _ZN9rocsparseL14coo2csr_kernelILj512EliEEvT1_T0_PKS1_PS2_21rocsparse_index_base_.has_dyn_sized_stack, 0
	.set _ZN9rocsparseL14coo2csr_kernelILj512EliEEvT1_T0_PKS1_PS2_21rocsparse_index_base_.has_recursion, 0
	.set _ZN9rocsparseL14coo2csr_kernelILj512EliEEvT1_T0_PKS1_PS2_21rocsparse_index_base_.has_indirect_call, 0
	.section	.AMDGPU.csdata,"",@progbits
; Kernel info:
; codeLenInByte = 388
; TotalNumSgprs: 12
; NumVgprs: 11
; ScratchSize: 0
; MemoryBound: 0
; FloatMode: 240
; IeeeMode: 1
; LDSByteSize: 0 bytes/workgroup (compile time only)
; SGPRBlocks: 0
; VGPRBlocks: 1
; NumSGPRsForWavesPerEU: 12
; NumVGPRsForWavesPerEU: 11
; Occupancy: 16
; WaveLimiterHint : 0
; COMPUTE_PGM_RSRC2:SCRATCH_EN: 0
; COMPUTE_PGM_RSRC2:USER_SGPR: 6
; COMPUTE_PGM_RSRC2:TRAP_HANDLER: 0
; COMPUTE_PGM_RSRC2:TGID_X_EN: 1
; COMPUTE_PGM_RSRC2:TGID_Y_EN: 0
; COMPUTE_PGM_RSRC2:TGID_Z_EN: 0
; COMPUTE_PGM_RSRC2:TIDIG_COMP_CNT: 0
	.section	.text._ZN9rocsparseL14coo2csr_kernelILj512EilEEvT1_T0_PKS1_PS2_21rocsparse_index_base_,"axG",@progbits,_ZN9rocsparseL14coo2csr_kernelILj512EilEEvT1_T0_PKS1_PS2_21rocsparse_index_base_,comdat
	.globl	_ZN9rocsparseL14coo2csr_kernelILj512EilEEvT1_T0_PKS1_PS2_21rocsparse_index_base_ ; -- Begin function _ZN9rocsparseL14coo2csr_kernelILj512EilEEvT1_T0_PKS1_PS2_21rocsparse_index_base_
	.p2align	8
	.type	_ZN9rocsparseL14coo2csr_kernelILj512EilEEvT1_T0_PKS1_PS2_21rocsparse_index_base_,@function
_ZN9rocsparseL14coo2csr_kernelILj512EilEEvT1_T0_PKS1_PS2_21rocsparse_index_base_: ; @_ZN9rocsparseL14coo2csr_kernelILj512EilEEvT1_T0_PKS1_PS2_21rocsparse_index_base_
; %bb.0:
	s_load_dwordx2 s[8:9], s[4:5], 0x0
	v_lshl_or_b32 v0, s6, 9, v0
	v_mov_b32_e32 v1, 0
	s_mov_b32 s0, exec_lo
	s_waitcnt lgkmcnt(0)
	v_cmpx_gt_i64_e64 s[8:9], v[0:1]
	s_cbranch_execz .LBB2_11
; %bb.1:
	s_clause 0x2
	s_load_dword s6, s[4:5], 0x8
	s_load_dwordx4 s[0:3], s[4:5], 0x10
	s_load_dword s4, s[4:5], 0x20
	s_mov_b32 s5, exec_lo
                                        ; implicit-def: $vgpr2
	v_cmpx_ne_u32_e32 0, v0
	s_xor_b32 s5, exec_lo, s5
	s_cbranch_execz .LBB2_8
; %bb.2:
	s_waitcnt lgkmcnt(0)
	s_cmp_lt_i32 s6, 1
	s_cbranch_scc1 .LBB2_6
; %bb.3:
	v_add_co_u32 v2, s7, s4, v0
	v_add_co_ci_u32_e64 v3, null, 0, 0, s7
	v_mov_b32_e32 v5, 0
	v_mov_b32_e32 v7, s6
	;; [unrolled: 1-line block ×3, first 2 shown]
	s_mov_b32 s7, 0
	.p2align	6
.LBB2_4:                                ; =>This Inner Loop Header: Depth=1
	v_sub_nc_u32_e32 v4, v7, v6
	v_lshrrev_b32_e32 v4, 1, v4
	v_add_nc_u32_e32 v4, v4, v6
	v_lshlrev_b64 v[8:9], 3, v[4:5]
	v_add_co_u32 v8, vcc_lo, s0, v8
	v_add_co_ci_u32_e64 v9, null, s1, v9, vcc_lo
	global_load_dwordx2 v[8:9], v[8:9], off
	s_waitcnt vmcnt(0)
	v_cmp_lt_i64_e32 vcc_lo, v[8:9], v[2:3]
	v_add_nc_u32_e32 v8, 1, v4
	v_cndmask_b32_e32 v7, v4, v7, vcc_lo
	v_cndmask_b32_e32 v6, v6, v8, vcc_lo
	v_cmp_ge_i32_e32 vcc_lo, v6, v7
	s_or_b32 s7, vcc_lo, s7
	s_andn2_b32 exec_lo, exec_lo, s7
	s_cbranch_execnz .LBB2_4
; %bb.5:
	s_or_b32 exec_lo, exec_lo, s7
	s_branch .LBB2_7
.LBB2_6:
	v_mov_b32_e32 v6, 0
.LBB2_7:
	v_add_nc_u32_e32 v2, s4, v6
.LBB2_8:
	s_waitcnt lgkmcnt(0)
	s_andn2_saveexec_b32 s0, s5
	s_cbranch_execz .LBB2_10
; %bb.9:
	s_add_i32 s1, s4, s6
	v_mov_b32_e32 v0, s8
	v_mov_b32_e32 v3, 0
	;; [unrolled: 1-line block ×5, first 2 shown]
	global_store_dword v3, v4, s[2:3]
.LBB2_10:
	s_or_b32 exec_lo, exec_lo, s0
	v_lshlrev_b64 v[0:1], 2, v[0:1]
	v_add_co_u32 v0, vcc_lo, s2, v0
	v_add_co_ci_u32_e64 v1, null, s3, v1, vcc_lo
	global_store_dword v[0:1], v2, off
.LBB2_11:
	s_endpgm
	.section	.rodata,"a",@progbits
	.p2align	6, 0x0
	.amdhsa_kernel _ZN9rocsparseL14coo2csr_kernelILj512EilEEvT1_T0_PKS1_PS2_21rocsparse_index_base_
		.amdhsa_group_segment_fixed_size 0
		.amdhsa_private_segment_fixed_size 0
		.amdhsa_kernarg_size 36
		.amdhsa_user_sgpr_count 6
		.amdhsa_user_sgpr_private_segment_buffer 1
		.amdhsa_user_sgpr_dispatch_ptr 0
		.amdhsa_user_sgpr_queue_ptr 0
		.amdhsa_user_sgpr_kernarg_segment_ptr 1
		.amdhsa_user_sgpr_dispatch_id 0
		.amdhsa_user_sgpr_flat_scratch_init 0
		.amdhsa_user_sgpr_private_segment_size 0
		.amdhsa_wavefront_size32 1
		.amdhsa_uses_dynamic_stack 0
		.amdhsa_system_sgpr_private_segment_wavefront_offset 0
		.amdhsa_system_sgpr_workgroup_id_x 1
		.amdhsa_system_sgpr_workgroup_id_y 0
		.amdhsa_system_sgpr_workgroup_id_z 0
		.amdhsa_system_sgpr_workgroup_info 0
		.amdhsa_system_vgpr_workitem_id 0
		.amdhsa_next_free_vgpr 10
		.amdhsa_next_free_sgpr 10
		.amdhsa_reserve_vcc 1
		.amdhsa_reserve_flat_scratch 0
		.amdhsa_float_round_mode_32 0
		.amdhsa_float_round_mode_16_64 0
		.amdhsa_float_denorm_mode_32 3
		.amdhsa_float_denorm_mode_16_64 3
		.amdhsa_dx10_clamp 1
		.amdhsa_ieee_mode 1
		.amdhsa_fp16_overflow 0
		.amdhsa_workgroup_processor_mode 1
		.amdhsa_memory_ordered 1
		.amdhsa_forward_progress 1
		.amdhsa_shared_vgpr_count 0
		.amdhsa_exception_fp_ieee_invalid_op 0
		.amdhsa_exception_fp_denorm_src 0
		.amdhsa_exception_fp_ieee_div_zero 0
		.amdhsa_exception_fp_ieee_overflow 0
		.amdhsa_exception_fp_ieee_underflow 0
		.amdhsa_exception_fp_ieee_inexact 0
		.amdhsa_exception_int_div_zero 0
	.end_amdhsa_kernel
	.section	.text._ZN9rocsparseL14coo2csr_kernelILj512EilEEvT1_T0_PKS1_PS2_21rocsparse_index_base_,"axG",@progbits,_ZN9rocsparseL14coo2csr_kernelILj512EilEEvT1_T0_PKS1_PS2_21rocsparse_index_base_,comdat
.Lfunc_end2:
	.size	_ZN9rocsparseL14coo2csr_kernelILj512EilEEvT1_T0_PKS1_PS2_21rocsparse_index_base_, .Lfunc_end2-_ZN9rocsparseL14coo2csr_kernelILj512EilEEvT1_T0_PKS1_PS2_21rocsparse_index_base_
                                        ; -- End function
	.set _ZN9rocsparseL14coo2csr_kernelILj512EilEEvT1_T0_PKS1_PS2_21rocsparse_index_base_.num_vgpr, 10
	.set _ZN9rocsparseL14coo2csr_kernelILj512EilEEvT1_T0_PKS1_PS2_21rocsparse_index_base_.num_agpr, 0
	.set _ZN9rocsparseL14coo2csr_kernelILj512EilEEvT1_T0_PKS1_PS2_21rocsparse_index_base_.numbered_sgpr, 10
	.set _ZN9rocsparseL14coo2csr_kernelILj512EilEEvT1_T0_PKS1_PS2_21rocsparse_index_base_.num_named_barrier, 0
	.set _ZN9rocsparseL14coo2csr_kernelILj512EilEEvT1_T0_PKS1_PS2_21rocsparse_index_base_.private_seg_size, 0
	.set _ZN9rocsparseL14coo2csr_kernelILj512EilEEvT1_T0_PKS1_PS2_21rocsparse_index_base_.uses_vcc, 1
	.set _ZN9rocsparseL14coo2csr_kernelILj512EilEEvT1_T0_PKS1_PS2_21rocsparse_index_base_.uses_flat_scratch, 0
	.set _ZN9rocsparseL14coo2csr_kernelILj512EilEEvT1_T0_PKS1_PS2_21rocsparse_index_base_.has_dyn_sized_stack, 0
	.set _ZN9rocsparseL14coo2csr_kernelILj512EilEEvT1_T0_PKS1_PS2_21rocsparse_index_base_.has_recursion, 0
	.set _ZN9rocsparseL14coo2csr_kernelILj512EilEEvT1_T0_PKS1_PS2_21rocsparse_index_base_.has_indirect_call, 0
	.section	.AMDGPU.csdata,"",@progbits
; Kernel info:
; codeLenInByte = 308
; TotalNumSgprs: 12
; NumVgprs: 10
; ScratchSize: 0
; MemoryBound: 0
; FloatMode: 240
; IeeeMode: 1
; LDSByteSize: 0 bytes/workgroup (compile time only)
; SGPRBlocks: 0
; VGPRBlocks: 1
; NumSGPRsForWavesPerEU: 12
; NumVGPRsForWavesPerEU: 10
; Occupancy: 16
; WaveLimiterHint : 0
; COMPUTE_PGM_RSRC2:SCRATCH_EN: 0
; COMPUTE_PGM_RSRC2:USER_SGPR: 6
; COMPUTE_PGM_RSRC2:TRAP_HANDLER: 0
; COMPUTE_PGM_RSRC2:TGID_X_EN: 1
; COMPUTE_PGM_RSRC2:TGID_Y_EN: 0
; COMPUTE_PGM_RSRC2:TGID_Z_EN: 0
; COMPUTE_PGM_RSRC2:TIDIG_COMP_CNT: 0
	.section	.text._ZN9rocsparseL14coo2csr_kernelILj512EllEEvT1_T0_PKS1_PS2_21rocsparse_index_base_,"axG",@progbits,_ZN9rocsparseL14coo2csr_kernelILj512EllEEvT1_T0_PKS1_PS2_21rocsparse_index_base_,comdat
	.globl	_ZN9rocsparseL14coo2csr_kernelILj512EllEEvT1_T0_PKS1_PS2_21rocsparse_index_base_ ; -- Begin function _ZN9rocsparseL14coo2csr_kernelILj512EllEEvT1_T0_PKS1_PS2_21rocsparse_index_base_
	.p2align	8
	.type	_ZN9rocsparseL14coo2csr_kernelILj512EllEEvT1_T0_PKS1_PS2_21rocsparse_index_base_,@function
_ZN9rocsparseL14coo2csr_kernelILj512EllEEvT1_T0_PKS1_PS2_21rocsparse_index_base_: ; @_ZN9rocsparseL14coo2csr_kernelILj512EllEEvT1_T0_PKS1_PS2_21rocsparse_index_base_
; %bb.0:
	s_load_dwordx8 s[8:15], s[4:5], 0x0
	v_lshl_or_b32 v0, s6, 9, v0
	v_mov_b32_e32 v1, 0
	s_mov_b32 s0, exec_lo
	s_waitcnt lgkmcnt(0)
	v_cmpx_gt_i64_e64 s[8:9], v[0:1]
	s_cbranch_execz .LBB3_9
; %bb.1:
	s_load_dword s2, s[4:5], 0x20
	s_mov_b32 s3, 0
                                        ; implicit-def: $vgpr2_vgpr3
	s_mov_b32 s0, exec_lo
	v_cmpx_ne_u32_e32 0, v0
	s_xor_b32 s1, exec_lo, s0
	s_cbranch_execz .LBB3_6
; %bb.2:
	v_cmp_lt_i64_e64 s0, s[10:11], 1
	s_and_b32 vcc_lo, exec_lo, s0
	s_cbranch_vccnz .LBB3_10
; %bb.3:
	s_waitcnt lgkmcnt(0)
	v_add_co_u32 v4, s0, s2, v0
	v_mov_b32_e32 v2, 0
	v_mov_b32_e32 v6, s10
	v_add_co_ci_u32_e64 v5, null, 0, 0, s0
	v_mov_b32_e32 v3, 0
	v_mov_b32_e32 v7, s11
	s_mov_b32 s4, 0
	s_inst_prefetch 0x1
	.p2align	6
.LBB3_4:                                ; =>This Inner Loop Header: Depth=1
	v_sub_co_u32 v8, vcc_lo, v6, v2
	v_sub_co_ci_u32_e64 v9, null, v7, v3, vcc_lo
	v_lshrrev_b64 v[8:9], 1, v[8:9]
	v_add_co_u32 v8, vcc_lo, v8, v2
	v_add_co_ci_u32_e64 v9, null, v9, v3, vcc_lo
	v_lshlrev_b64 v[10:11], 3, v[8:9]
	v_add_co_u32 v10, vcc_lo, s12, v10
	v_add_co_ci_u32_e64 v11, null, s13, v11, vcc_lo
	v_add_co_u32 v12, vcc_lo, v8, 1
	global_load_dwordx2 v[10:11], v[10:11], off
	s_waitcnt vmcnt(0)
	v_cmp_lt_i64_e64 s0, v[10:11], v[4:5]
	v_add_co_ci_u32_e64 v10, null, 0, v9, vcc_lo
	v_cndmask_b32_e64 v7, v9, v7, s0
	v_cndmask_b32_e64 v6, v8, v6, s0
	;; [unrolled: 1-line block ×4, first 2 shown]
	v_cmp_ge_i64_e32 vcc_lo, v[2:3], v[6:7]
	s_or_b32 s4, vcc_lo, s4
	s_andn2_b32 exec_lo, exec_lo, s4
	s_cbranch_execnz .LBB3_4
; %bb.5:
	s_inst_prefetch 0x2
	s_or_b32 exec_lo, exec_lo, s4
.LBB3_6:
	s_andn2_saveexec_b32 s0, s1
	s_cbranch_execz .LBB3_8
.LBB3_7:
	s_waitcnt lgkmcnt(0)
	v_mov_b32_e32 v5, s3
	v_mov_b32_e32 v2, s10
	;; [unrolled: 1-line block ×7, first 2 shown]
	global_store_dwordx2 v6, v[4:5], s[14:15]
.LBB3_8:
	s_or_b32 exec_lo, exec_lo, s0
	v_lshlrev_b64 v[0:1], 3, v[0:1]
	s_waitcnt lgkmcnt(0)
	v_add_co_u32 v2, vcc_lo, v2, s2
	v_add_co_ci_u32_e64 v3, null, 0, v3, vcc_lo
	v_add_co_u32 v0, vcc_lo, s14, v0
	v_add_co_ci_u32_e64 v1, null, s15, v1, vcc_lo
	global_store_dwordx2 v[0:1], v[2:3], off
.LBB3_9:
	s_endpgm
.LBB3_10:
	v_mov_b32_e32 v2, 0
	v_mov_b32_e32 v3, 0
	s_andn2_saveexec_b32 s0, s1
	s_cbranch_execnz .LBB3_7
	s_branch .LBB3_8
	.section	.rodata,"a",@progbits
	.p2align	6, 0x0
	.amdhsa_kernel _ZN9rocsparseL14coo2csr_kernelILj512EllEEvT1_T0_PKS1_PS2_21rocsparse_index_base_
		.amdhsa_group_segment_fixed_size 0
		.amdhsa_private_segment_fixed_size 0
		.amdhsa_kernarg_size 36
		.amdhsa_user_sgpr_count 6
		.amdhsa_user_sgpr_private_segment_buffer 1
		.amdhsa_user_sgpr_dispatch_ptr 0
		.amdhsa_user_sgpr_queue_ptr 0
		.amdhsa_user_sgpr_kernarg_segment_ptr 1
		.amdhsa_user_sgpr_dispatch_id 0
		.amdhsa_user_sgpr_flat_scratch_init 0
		.amdhsa_user_sgpr_private_segment_size 0
		.amdhsa_wavefront_size32 1
		.amdhsa_uses_dynamic_stack 0
		.amdhsa_system_sgpr_private_segment_wavefront_offset 0
		.amdhsa_system_sgpr_workgroup_id_x 1
		.amdhsa_system_sgpr_workgroup_id_y 0
		.amdhsa_system_sgpr_workgroup_id_z 0
		.amdhsa_system_sgpr_workgroup_info 0
		.amdhsa_system_vgpr_workitem_id 0
		.amdhsa_next_free_vgpr 13
		.amdhsa_next_free_sgpr 16
		.amdhsa_reserve_vcc 1
		.amdhsa_reserve_flat_scratch 0
		.amdhsa_float_round_mode_32 0
		.amdhsa_float_round_mode_16_64 0
		.amdhsa_float_denorm_mode_32 3
		.amdhsa_float_denorm_mode_16_64 3
		.amdhsa_dx10_clamp 1
		.amdhsa_ieee_mode 1
		.amdhsa_fp16_overflow 0
		.amdhsa_workgroup_processor_mode 1
		.amdhsa_memory_ordered 1
		.amdhsa_forward_progress 1
		.amdhsa_shared_vgpr_count 0
		.amdhsa_exception_fp_ieee_invalid_op 0
		.amdhsa_exception_fp_denorm_src 0
		.amdhsa_exception_fp_ieee_div_zero 0
		.amdhsa_exception_fp_ieee_overflow 0
		.amdhsa_exception_fp_ieee_underflow 0
		.amdhsa_exception_fp_ieee_inexact 0
		.amdhsa_exception_int_div_zero 0
	.end_amdhsa_kernel
	.section	.text._ZN9rocsparseL14coo2csr_kernelILj512EllEEvT1_T0_PKS1_PS2_21rocsparse_index_base_,"axG",@progbits,_ZN9rocsparseL14coo2csr_kernelILj512EllEEvT1_T0_PKS1_PS2_21rocsparse_index_base_,comdat
.Lfunc_end3:
	.size	_ZN9rocsparseL14coo2csr_kernelILj512EllEEvT1_T0_PKS1_PS2_21rocsparse_index_base_, .Lfunc_end3-_ZN9rocsparseL14coo2csr_kernelILj512EllEEvT1_T0_PKS1_PS2_21rocsparse_index_base_
                                        ; -- End function
	.set _ZN9rocsparseL14coo2csr_kernelILj512EllEEvT1_T0_PKS1_PS2_21rocsparse_index_base_.num_vgpr, 13
	.set _ZN9rocsparseL14coo2csr_kernelILj512EllEEvT1_T0_PKS1_PS2_21rocsparse_index_base_.num_agpr, 0
	.set _ZN9rocsparseL14coo2csr_kernelILj512EllEEvT1_T0_PKS1_PS2_21rocsparse_index_base_.numbered_sgpr, 16
	.set _ZN9rocsparseL14coo2csr_kernelILj512EllEEvT1_T0_PKS1_PS2_21rocsparse_index_base_.num_named_barrier, 0
	.set _ZN9rocsparseL14coo2csr_kernelILj512EllEEvT1_T0_PKS1_PS2_21rocsparse_index_base_.private_seg_size, 0
	.set _ZN9rocsparseL14coo2csr_kernelILj512EllEEvT1_T0_PKS1_PS2_21rocsparse_index_base_.uses_vcc, 1
	.set _ZN9rocsparseL14coo2csr_kernelILj512EllEEvT1_T0_PKS1_PS2_21rocsparse_index_base_.uses_flat_scratch, 0
	.set _ZN9rocsparseL14coo2csr_kernelILj512EllEEvT1_T0_PKS1_PS2_21rocsparse_index_base_.has_dyn_sized_stack, 0
	.set _ZN9rocsparseL14coo2csr_kernelILj512EllEEvT1_T0_PKS1_PS2_21rocsparse_index_base_.has_recursion, 0
	.set _ZN9rocsparseL14coo2csr_kernelILj512EllEEvT1_T0_PKS1_PS2_21rocsparse_index_base_.has_indirect_call, 0
	.section	.AMDGPU.csdata,"",@progbits
; Kernel info:
; codeLenInByte = 412
; TotalNumSgprs: 18
; NumVgprs: 13
; ScratchSize: 0
; MemoryBound: 0
; FloatMode: 240
; IeeeMode: 1
; LDSByteSize: 0 bytes/workgroup (compile time only)
; SGPRBlocks: 0
; VGPRBlocks: 1
; NumSGPRsForWavesPerEU: 18
; NumVGPRsForWavesPerEU: 13
; Occupancy: 16
; WaveLimiterHint : 0
; COMPUTE_PGM_RSRC2:SCRATCH_EN: 0
; COMPUTE_PGM_RSRC2:USER_SGPR: 6
; COMPUTE_PGM_RSRC2:TRAP_HANDLER: 0
; COMPUTE_PGM_RSRC2:TGID_X_EN: 1
; COMPUTE_PGM_RSRC2:TGID_Y_EN: 0
; COMPUTE_PGM_RSRC2:TGID_Z_EN: 0
; COMPUTE_PGM_RSRC2:TIDIG_COMP_CNT: 0
	.section	.AMDGPU.gpr_maximums,"",@progbits
	.set amdgpu.max_num_vgpr, 0
	.set amdgpu.max_num_agpr, 0
	.set amdgpu.max_num_sgpr, 0
	.section	.AMDGPU.csdata,"",@progbits
	.type	__hip_cuid_5e0e03f4b70e9696,@object ; @__hip_cuid_5e0e03f4b70e9696
	.section	.bss,"aw",@nobits
	.globl	__hip_cuid_5e0e03f4b70e9696
__hip_cuid_5e0e03f4b70e9696:
	.byte	0                               ; 0x0
	.size	__hip_cuid_5e0e03f4b70e9696, 1

	.ident	"AMD clang version 22.0.0git (https://github.com/RadeonOpenCompute/llvm-project roc-7.2.4 26084 f58b06dce1f9c15707c5f808fd002e18c2accf7e)"
	.section	".note.GNU-stack","",@progbits
	.addrsig
	.addrsig_sym __hip_cuid_5e0e03f4b70e9696
	.amdgpu_metadata
---
amdhsa.kernels:
  - .args:
      - .offset:         0
        .size:           4
        .value_kind:     by_value
      - .offset:         4
        .size:           4
        .value_kind:     by_value
      - .address_space:  global
        .offset:         8
        .size:           8
        .value_kind:     global_buffer
      - .address_space:  global
        .offset:         16
        .size:           8
        .value_kind:     global_buffer
      - .offset:         24
        .size:           4
        .value_kind:     by_value
    .group_segment_fixed_size: 0
    .kernarg_segment_align: 8
    .kernarg_segment_size: 28
    .language:       OpenCL C
    .language_version:
      - 2
      - 0
    .max_flat_workgroup_size: 512
    .name:           _ZN9rocsparseL14coo2csr_kernelILj512EiiEEvT1_T0_PKS1_PS2_21rocsparse_index_base_
    .private_segment_fixed_size: 0
    .sgpr_count:     12
    .sgpr_spill_count: 0
    .symbol:         _ZN9rocsparseL14coo2csr_kernelILj512EiiEEvT1_T0_PKS1_PS2_21rocsparse_index_base_.kd
    .uniform_work_group_size: 1
    .uses_dynamic_stack: false
    .vgpr_count:     8
    .vgpr_spill_count: 0
    .wavefront_size: 32
    .workgroup_processor_mode: 1
  - .args:
      - .offset:         0
        .size:           4
        .value_kind:     by_value
      - .offset:         8
        .size:           8
        .value_kind:     by_value
      - .address_space:  global
        .offset:         16
        .size:           8
        .value_kind:     global_buffer
      - .address_space:  global
        .offset:         24
        .size:           8
        .value_kind:     global_buffer
      - .offset:         32
        .size:           4
        .value_kind:     by_value
    .group_segment_fixed_size: 0
    .kernarg_segment_align: 8
    .kernarg_segment_size: 36
    .language:       OpenCL C
    .language_version:
      - 2
      - 0
    .max_flat_workgroup_size: 512
    .name:           _ZN9rocsparseL14coo2csr_kernelILj512EliEEvT1_T0_PKS1_PS2_21rocsparse_index_base_
    .private_segment_fixed_size: 0
    .sgpr_count:     12
    .sgpr_spill_count: 0
    .symbol:         _ZN9rocsparseL14coo2csr_kernelILj512EliEEvT1_T0_PKS1_PS2_21rocsparse_index_base_.kd
    .uniform_work_group_size: 1
    .uses_dynamic_stack: false
    .vgpr_count:     11
    .vgpr_spill_count: 0
    .wavefront_size: 32
    .workgroup_processor_mode: 1
  - .args:
      - .offset:         0
        .size:           8
        .value_kind:     by_value
      - .offset:         8
        .size:           4
        .value_kind:     by_value
      - .address_space:  global
        .offset:         16
        .size:           8
        .value_kind:     global_buffer
      - .address_space:  global
        .offset:         24
        .size:           8
        .value_kind:     global_buffer
      - .offset:         32
        .size:           4
        .value_kind:     by_value
    .group_segment_fixed_size: 0
    .kernarg_segment_align: 8
    .kernarg_segment_size: 36
    .language:       OpenCL C
    .language_version:
      - 2
      - 0
    .max_flat_workgroup_size: 512
    .name:           _ZN9rocsparseL14coo2csr_kernelILj512EilEEvT1_T0_PKS1_PS2_21rocsparse_index_base_
    .private_segment_fixed_size: 0
    .sgpr_count:     12
    .sgpr_spill_count: 0
    .symbol:         _ZN9rocsparseL14coo2csr_kernelILj512EilEEvT1_T0_PKS1_PS2_21rocsparse_index_base_.kd
    .uniform_work_group_size: 1
    .uses_dynamic_stack: false
    .vgpr_count:     10
    .vgpr_spill_count: 0
    .wavefront_size: 32
    .workgroup_processor_mode: 1
  - .args:
      - .offset:         0
        .size:           8
        .value_kind:     by_value
      - .offset:         8
        .size:           8
        .value_kind:     by_value
      - .address_space:  global
        .offset:         16
        .size:           8
        .value_kind:     global_buffer
      - .address_space:  global
        .offset:         24
        .size:           8
        .value_kind:     global_buffer
      - .offset:         32
        .size:           4
        .value_kind:     by_value
    .group_segment_fixed_size: 0
    .kernarg_segment_align: 8
    .kernarg_segment_size: 36
    .language:       OpenCL C
    .language_version:
      - 2
      - 0
    .max_flat_workgroup_size: 512
    .name:           _ZN9rocsparseL14coo2csr_kernelILj512EllEEvT1_T0_PKS1_PS2_21rocsparse_index_base_
    .private_segment_fixed_size: 0
    .sgpr_count:     18
    .sgpr_spill_count: 0
    .symbol:         _ZN9rocsparseL14coo2csr_kernelILj512EllEEvT1_T0_PKS1_PS2_21rocsparse_index_base_.kd
    .uniform_work_group_size: 1
    .uses_dynamic_stack: false
    .vgpr_count:     13
    .vgpr_spill_count: 0
    .wavefront_size: 32
    .workgroup_processor_mode: 1
amdhsa.target:   amdgcn-amd-amdhsa--gfx1030
amdhsa.version:
  - 1
  - 2
...

	.end_amdgpu_metadata
